;; amdgpu-corpus repo=ROCm/rocFFT kind=compiled arch=gfx906 opt=O3
	.text
	.amdgcn_target "amdgcn-amd-amdhsa--gfx906"
	.amdhsa_code_object_version 6
	.protected	fft_rtc_back_len2400_factors_4_10_10_6_wgs_240_tpt_240_halfLds_dp_op_CI_CI_unitstride_sbrr_C2R_dirReg ; -- Begin function fft_rtc_back_len2400_factors_4_10_10_6_wgs_240_tpt_240_halfLds_dp_op_CI_CI_unitstride_sbrr_C2R_dirReg
	.globl	fft_rtc_back_len2400_factors_4_10_10_6_wgs_240_tpt_240_halfLds_dp_op_CI_CI_unitstride_sbrr_C2R_dirReg
	.p2align	8
	.type	fft_rtc_back_len2400_factors_4_10_10_6_wgs_240_tpt_240_halfLds_dp_op_CI_CI_unitstride_sbrr_C2R_dirReg,@function
fft_rtc_back_len2400_factors_4_10_10_6_wgs_240_tpt_240_halfLds_dp_op_CI_CI_unitstride_sbrr_C2R_dirReg: ; @fft_rtc_back_len2400_factors_4_10_10_6_wgs_240_tpt_240_halfLds_dp_op_CI_CI_unitstride_sbrr_C2R_dirReg
; %bb.0:
	s_load_dwordx4 s[8:11], s[4:5], 0x58
	s_load_dwordx4 s[12:15], s[4:5], 0x0
	;; [unrolled: 1-line block ×3, first 2 shown]
	v_mul_u32_u24_e32 v1, 0x112, v0
	v_add_u32_sdwa v5, s6, v1 dst_sel:DWORD dst_unused:UNUSED_PAD src0_sel:DWORD src1_sel:WORD_1
	v_mov_b32_e32 v3, 0
	s_waitcnt lgkmcnt(0)
	v_cmp_lt_u64_e64 s[0:1], s[14:15], 2
	v_mov_b32_e32 v1, 0
	v_mov_b32_e32 v6, v3
	s_and_b64 vcc, exec, s[0:1]
	v_mov_b32_e32 v2, 0
	s_cbranch_vccnz .LBB0_8
; %bb.1:
	s_load_dwordx2 s[0:1], s[4:5], 0x10
	s_add_u32 s2, s18, 8
	s_addc_u32 s3, s19, 0
	s_add_u32 s6, s16, 8
	v_mov_b32_e32 v1, 0
	s_addc_u32 s7, s17, 0
	v_mov_b32_e32 v2, 0
	s_waitcnt lgkmcnt(0)
	s_add_u32 s20, s0, 8
	v_mov_b32_e32 v49, v2
	s_addc_u32 s21, s1, 0
	s_mov_b64 s[22:23], 1
	v_mov_b32_e32 v48, v1
.LBB0_2:                                ; =>This Inner Loop Header: Depth=1
	s_load_dwordx2 s[24:25], s[20:21], 0x0
                                        ; implicit-def: $vgpr52_vgpr53
	s_waitcnt lgkmcnt(0)
	v_or_b32_e32 v4, s25, v6
	v_cmp_ne_u64_e32 vcc, 0, v[3:4]
	s_and_saveexec_b64 s[0:1], vcc
	s_xor_b64 s[26:27], exec, s[0:1]
	s_cbranch_execz .LBB0_4
; %bb.3:                                ;   in Loop: Header=BB0_2 Depth=1
	v_cvt_f32_u32_e32 v4, s24
	v_cvt_f32_u32_e32 v7, s25
	s_sub_u32 s0, 0, s24
	s_subb_u32 s1, 0, s25
	v_mac_f32_e32 v4, 0x4f800000, v7
	v_rcp_f32_e32 v4, v4
	v_mul_f32_e32 v4, 0x5f7ffffc, v4
	v_mul_f32_e32 v7, 0x2f800000, v4
	v_trunc_f32_e32 v7, v7
	v_mac_f32_e32 v4, 0xcf800000, v7
	v_cvt_u32_f32_e32 v7, v7
	v_cvt_u32_f32_e32 v4, v4
	v_mul_lo_u32 v8, s0, v7
	v_mul_hi_u32 v9, s0, v4
	v_mul_lo_u32 v11, s1, v4
	v_mul_lo_u32 v10, s0, v4
	v_add_u32_e32 v8, v9, v8
	v_add_u32_e32 v8, v8, v11
	v_mul_hi_u32 v9, v4, v10
	v_mul_lo_u32 v11, v4, v8
	v_mul_hi_u32 v13, v4, v8
	v_mul_hi_u32 v12, v7, v10
	v_mul_lo_u32 v10, v7, v10
	v_mul_hi_u32 v14, v7, v8
	v_add_co_u32_e32 v9, vcc, v9, v11
	v_addc_co_u32_e32 v11, vcc, 0, v13, vcc
	v_mul_lo_u32 v8, v7, v8
	v_add_co_u32_e32 v9, vcc, v9, v10
	v_addc_co_u32_e32 v9, vcc, v11, v12, vcc
	v_addc_co_u32_e32 v10, vcc, 0, v14, vcc
	v_add_co_u32_e32 v8, vcc, v9, v8
	v_addc_co_u32_e32 v9, vcc, 0, v10, vcc
	v_add_co_u32_e32 v4, vcc, v4, v8
	v_addc_co_u32_e32 v7, vcc, v7, v9, vcc
	v_mul_lo_u32 v8, s0, v7
	v_mul_hi_u32 v9, s0, v4
	v_mul_lo_u32 v10, s1, v4
	v_mul_lo_u32 v11, s0, v4
	v_add_u32_e32 v8, v9, v8
	v_add_u32_e32 v8, v8, v10
	v_mul_lo_u32 v12, v4, v8
	v_mul_hi_u32 v13, v4, v11
	v_mul_hi_u32 v14, v4, v8
	v_mul_hi_u32 v10, v7, v11
	v_mul_lo_u32 v11, v7, v11
	v_mul_hi_u32 v9, v7, v8
	v_add_co_u32_e32 v12, vcc, v13, v12
	v_addc_co_u32_e32 v13, vcc, 0, v14, vcc
	v_mul_lo_u32 v8, v7, v8
	v_add_co_u32_e32 v11, vcc, v12, v11
	v_addc_co_u32_e32 v10, vcc, v13, v10, vcc
	v_addc_co_u32_e32 v9, vcc, 0, v9, vcc
	v_add_co_u32_e32 v8, vcc, v10, v8
	v_addc_co_u32_e32 v9, vcc, 0, v9, vcc
	v_add_co_u32_e32 v4, vcc, v4, v8
	v_addc_co_u32_e32 v9, vcc, v7, v9, vcc
	v_mad_u64_u32 v[7:8], s[0:1], v5, v9, 0
	v_mul_hi_u32 v10, v5, v4
	v_add_co_u32_e32 v11, vcc, v10, v7
	v_addc_co_u32_e32 v12, vcc, 0, v8, vcc
	v_mad_u64_u32 v[7:8], s[0:1], v6, v4, 0
	v_mad_u64_u32 v[9:10], s[0:1], v6, v9, 0
	v_add_co_u32_e32 v4, vcc, v11, v7
	v_addc_co_u32_e32 v4, vcc, v12, v8, vcc
	v_addc_co_u32_e32 v7, vcc, 0, v10, vcc
	v_add_co_u32_e32 v4, vcc, v4, v9
	v_addc_co_u32_e32 v9, vcc, 0, v7, vcc
	v_mul_lo_u32 v10, s25, v4
	v_mul_lo_u32 v11, s24, v9
	v_mad_u64_u32 v[7:8], s[0:1], s24, v4, 0
	v_add3_u32 v8, v8, v11, v10
	v_sub_u32_e32 v10, v6, v8
	v_mov_b32_e32 v11, s25
	v_sub_co_u32_e32 v7, vcc, v5, v7
	v_subb_co_u32_e64 v10, s[0:1], v10, v11, vcc
	v_subrev_co_u32_e64 v11, s[0:1], s24, v7
	v_subbrev_co_u32_e64 v10, s[0:1], 0, v10, s[0:1]
	v_cmp_le_u32_e64 s[0:1], s25, v10
	v_cndmask_b32_e64 v12, 0, -1, s[0:1]
	v_cmp_le_u32_e64 s[0:1], s24, v11
	v_cndmask_b32_e64 v11, 0, -1, s[0:1]
	v_cmp_eq_u32_e64 s[0:1], s25, v10
	v_cndmask_b32_e64 v10, v12, v11, s[0:1]
	v_add_co_u32_e64 v11, s[0:1], 2, v4
	v_addc_co_u32_e64 v12, s[0:1], 0, v9, s[0:1]
	v_add_co_u32_e64 v13, s[0:1], 1, v4
	v_addc_co_u32_e64 v14, s[0:1], 0, v9, s[0:1]
	v_subb_co_u32_e32 v8, vcc, v6, v8, vcc
	v_cmp_ne_u32_e64 s[0:1], 0, v10
	v_cmp_le_u32_e32 vcc, s25, v8
	v_cndmask_b32_e64 v10, v14, v12, s[0:1]
	v_cndmask_b32_e64 v12, 0, -1, vcc
	v_cmp_le_u32_e32 vcc, s24, v7
	v_cndmask_b32_e64 v7, 0, -1, vcc
	v_cmp_eq_u32_e32 vcc, s25, v8
	v_cndmask_b32_e32 v7, v12, v7, vcc
	v_cmp_ne_u32_e32 vcc, 0, v7
	v_cndmask_b32_e64 v7, v13, v11, s[0:1]
	v_cndmask_b32_e32 v53, v9, v10, vcc
	v_cndmask_b32_e32 v52, v4, v7, vcc
.LBB0_4:                                ;   in Loop: Header=BB0_2 Depth=1
	s_andn2_saveexec_b64 s[0:1], s[26:27]
	s_cbranch_execz .LBB0_6
; %bb.5:                                ;   in Loop: Header=BB0_2 Depth=1
	v_cvt_f32_u32_e32 v4, s24
	s_sub_i32 s26, 0, s24
	v_mov_b32_e32 v53, v3
	v_rcp_iflag_f32_e32 v4, v4
	v_mul_f32_e32 v4, 0x4f7ffffe, v4
	v_cvt_u32_f32_e32 v4, v4
	v_mul_lo_u32 v7, s26, v4
	v_mul_hi_u32 v7, v4, v7
	v_add_u32_e32 v4, v4, v7
	v_mul_hi_u32 v4, v5, v4
	v_mul_lo_u32 v7, v4, s24
	v_add_u32_e32 v8, 1, v4
	v_sub_u32_e32 v7, v5, v7
	v_subrev_u32_e32 v9, s24, v7
	v_cmp_le_u32_e32 vcc, s24, v7
	v_cndmask_b32_e32 v7, v7, v9, vcc
	v_cndmask_b32_e32 v4, v4, v8, vcc
	v_add_u32_e32 v8, 1, v4
	v_cmp_le_u32_e32 vcc, s24, v7
	v_cndmask_b32_e32 v52, v4, v8, vcc
.LBB0_6:                                ;   in Loop: Header=BB0_2 Depth=1
	s_or_b64 exec, exec, s[0:1]
	v_mul_lo_u32 v4, v53, s24
	v_mul_lo_u32 v9, v52, s25
	v_mad_u64_u32 v[7:8], s[0:1], v52, s24, 0
	s_load_dwordx2 s[0:1], s[6:7], 0x0
	s_load_dwordx2 s[24:25], s[2:3], 0x0
	v_add3_u32 v4, v8, v9, v4
	v_sub_co_u32_e32 v5, vcc, v5, v7
	v_subb_co_u32_e32 v4, vcc, v6, v4, vcc
	s_waitcnt lgkmcnt(0)
	v_mul_lo_u32 v6, s0, v4
	v_mul_lo_u32 v7, s1, v5
	v_mad_u64_u32 v[1:2], s[0:1], s0, v5, v[1:2]
	v_mul_lo_u32 v4, s24, v4
	v_mul_lo_u32 v8, s25, v5
	v_mad_u64_u32 v[48:49], s[0:1], s24, v5, v[48:49]
	s_add_u32 s22, s22, 1
	s_addc_u32 s23, s23, 0
	s_add_u32 s2, s2, 8
	v_add3_u32 v49, v8, v49, v4
	s_addc_u32 s3, s3, 0
	v_mov_b32_e32 v4, s14
	s_add_u32 s6, s6, 8
	v_mov_b32_e32 v5, s15
	s_addc_u32 s7, s7, 0
	v_cmp_ge_u64_e32 vcc, s[22:23], v[4:5]
	s_add_u32 s20, s20, 8
	v_add3_u32 v2, v7, v2, v6
	s_addc_u32 s21, s21, 0
	s_cbranch_vccnz .LBB0_9
; %bb.7:                                ;   in Loop: Header=BB0_2 Depth=1
	v_mov_b32_e32 v5, v52
	v_mov_b32_e32 v6, v53
	s_branch .LBB0_2
.LBB0_8:
	v_mov_b32_e32 v49, v2
	v_mov_b32_e32 v53, v6
	;; [unrolled: 1-line block ×4, first 2 shown]
.LBB0_9:
	s_load_dwordx2 s[2:3], s[4:5], 0x28
	s_lshl_b64 s[6:7], s[14:15], 3
	s_add_u32 s4, s18, s6
	s_addc_u32 s5, s19, s7
                                        ; implicit-def: $vgpr50
	s_waitcnt lgkmcnt(0)
	v_cmp_gt_u64_e64 s[0:1], s[2:3], v[52:53]
	v_cmp_le_u64_e32 vcc, s[2:3], v[52:53]
	s_and_saveexec_b64 s[2:3], vcc
	s_xor_b64 s[2:3], exec, s[2:3]
; %bb.10:
	s_mov_b32 s14, 0x1111112
	v_mul_hi_u32 v1, v0, s14
	v_mul_u32_u24_e32 v1, 0xf0, v1
	v_sub_u32_e32 v50, v0, v1
                                        ; implicit-def: $vgpr0
                                        ; implicit-def: $vgpr1_vgpr2
; %bb.11:
	s_or_saveexec_b64 s[2:3], s[2:3]
	s_load_dwordx2 s[4:5], s[4:5], 0x0
	s_xor_b64 exec, exec, s[2:3]
	s_cbranch_execz .LBB0_15
; %bb.12:
	s_add_u32 s6, s16, s6
	s_addc_u32 s7, s17, s7
	s_load_dwordx2 s[6:7], s[6:7], 0x0
	s_mov_b32 s14, 0x1111112
	v_mul_hi_u32 v5, v0, s14
	v_lshlrev_b64 v[1:2], 4, v[1:2]
	s_waitcnt lgkmcnt(0)
	v_mul_lo_u32 v6, s7, v52
	v_mul_lo_u32 v7, s6, v53
	v_mad_u64_u32 v[3:4], s[6:7], s6, v52, 0
	v_mul_u32_u24_e32 v5, 0xf0, v5
	v_sub_u32_e32 v50, v0, v5
	v_add3_u32 v4, v4, v7, v6
	v_lshlrev_b64 v[3:4], 4, v[3:4]
	v_mov_b32_e32 v0, s9
	v_add_co_u32_e32 v3, vcc, s8, v3
	v_addc_co_u32_e32 v0, vcc, v0, v4, vcc
	v_add_co_u32_e32 v1, vcc, v3, v1
	v_addc_co_u32_e32 v0, vcc, v0, v2, vcc
	v_lshlrev_b32_e32 v51, 4, v50
	v_add_co_u32_e32 v26, vcc, v1, v51
	v_addc_co_u32_e32 v27, vcc, 0, v0, vcc
	s_movk_i32 s6, 0x1000
	v_add_co_u32_e32 v18, vcc, s6, v26
	v_addc_co_u32_e32 v19, vcc, 0, v27, vcc
	s_movk_i32 s6, 0x2000
	;; [unrolled: 3-line block ×6, first 2 shown]
	v_add_co_u32_e32 v44, vcc, s6, v26
	v_addc_co_u32_e32 v45, vcc, 0, v27, vcc
	v_add_co_u32_e32 v46, vcc, 0x7000, v26
	v_addc_co_u32_e32 v47, vcc, 0, v27, vcc
	v_add_co_u32_e32 v54, vcc, 0x8000, v26
	global_load_dwordx4 v[2:5], v[26:27], off
	global_load_dwordx4 v[6:9], v[26:27], off offset:3840
	global_load_dwordx4 v[10:13], v[18:19], off offset:3584
	global_load_dwordx4 v[14:17], v[20:21], off offset:3328
	s_nop 0
	global_load_dwordx4 v[18:21], v[28:29], off offset:3072
	global_load_dwordx4 v[22:25], v[30:31], off offset:2816
	v_addc_co_u32_e32 v55, vcc, 0, v27, vcc
	global_load_dwordx4 v[26:29], v[42:43], off offset:2560
	global_load_dwordx4 v[30:33], v[44:45], off offset:2304
	global_load_dwordx4 v[34:37], v[46:47], off offset:2048
	global_load_dwordx4 v[38:41], v[54:55], off offset:1792
	s_movk_i32 s6, 0xef
	v_add_u32_e32 v42, 0, v51
	v_cmp_eq_u32_e32 vcc, s6, v50
	s_waitcnt vmcnt(9)
	ds_write_b128 v42, v[2:5]
	s_waitcnt vmcnt(8)
	ds_write_b128 v42, v[6:9] offset:3840
	s_waitcnt vmcnt(7)
	ds_write_b128 v42, v[10:13] offset:7680
	;; [unrolled: 2-line block ×9, first 2 shown]
	s_and_saveexec_b64 s[6:7], vcc
	s_cbranch_execz .LBB0_14
; %bb.13:
	v_add_co_u32_e32 v1, vcc, 0x9000, v1
	v_addc_co_u32_e32 v2, vcc, 0, v0, vcc
	global_load_dwordx4 v[0:3], v[1:2], off offset:1536
	v_mov_b32_e32 v4, 0
	v_mov_b32_e32 v50, 0xef
	s_waitcnt vmcnt(0)
	ds_write_b128 v4, v[0:3] offset:38400
.LBB0_14:
	s_or_b64 exec, exec, s[6:7]
.LBB0_15:
	s_or_b64 exec, exec, s[2:3]
	v_lshlrev_b32_e32 v0, 4, v50
	v_add_u32_e32 v56, 0, v0
	s_waitcnt lgkmcnt(0)
	s_barrier
	v_sub_u32_e32 v10, 0, v0
	ds_read_b64 v[6:7], v56
	ds_read_b64 v[8:9], v10 offset:38400
	s_add_u32 s6, s12, 0x95c0
	s_addc_u32 s7, s13, 0
	v_cmp_ne_u32_e32 vcc, 0, v50
                                        ; implicit-def: $vgpr4_vgpr5
	s_waitcnt lgkmcnt(0)
	v_add_f64 v[0:1], v[6:7], v[8:9]
	v_add_f64 v[2:3], v[6:7], -v[8:9]
	s_and_saveexec_b64 s[2:3], vcc
	s_xor_b64 s[2:3], exec, s[2:3]
	s_cbranch_execz .LBB0_17
; %bb.16:
	v_mov_b32_e32 v51, 0
	v_lshlrev_b64 v[0:1], 4, v[50:51]
	v_mov_b32_e32 v2, s7
	v_add_co_u32_e32 v0, vcc, s6, v0
	v_addc_co_u32_e32 v1, vcc, v2, v1, vcc
	global_load_dwordx4 v[2:5], v[0:1], off
	ds_read_b64 v[0:1], v10 offset:38408
	ds_read_b64 v[11:12], v56 offset:8
	v_add_f64 v[13:14], v[6:7], v[8:9]
	v_add_f64 v[8:9], v[6:7], -v[8:9]
	s_waitcnt lgkmcnt(0)
	v_add_f64 v[15:16], v[0:1], v[11:12]
	v_add_f64 v[0:1], v[11:12], -v[0:1]
	s_waitcnt vmcnt(0)
	v_fma_f64 v[6:7], -v[8:9], v[4:5], v[13:14]
	v_fma_f64 v[11:12], v[15:16], v[4:5], -v[0:1]
	v_fma_f64 v[13:14], v[8:9], v[4:5], v[13:14]
	v_fma_f64 v[17:18], v[15:16], v[4:5], v[0:1]
	;; [unrolled: 1-line block ×4, first 2 shown]
	v_fma_f64 v[0:1], -v[15:16], v[2:3], v[13:14]
	v_fma_f64 v[2:3], v[8:9], v[2:3], v[17:18]
	ds_write_b128 v10, v[4:7] offset:38400
	v_mov_b32_e32 v4, v50
	v_mov_b32_e32 v5, v51
.LBB0_17:
	s_andn2_saveexec_b64 s[2:3], s[2:3]
	s_cbranch_execz .LBB0_19
; %bb.18:
	v_mov_b32_e32 v8, 0
	ds_read_b128 v[4:7], v8 offset:19200
	s_waitcnt lgkmcnt(0)
	v_add_f64 v[11:12], v[4:5], v[4:5]
	v_mul_f64 v[13:14], v[6:7], -2.0
	v_mov_b32_e32 v4, 0
	v_mov_b32_e32 v5, 0
	ds_write_b128 v8, v[11:14] offset:19200
.LBB0_19:
	s_or_b64 exec, exec, s[2:3]
	v_lshlrev_b64 v[4:5], 4, v[4:5]
	v_mov_b32_e32 v6, s7
	v_add_co_u32_e32 v23, vcc, s6, v4
	v_addc_co_u32_e32 v24, vcc, v6, v5, vcc
	global_load_dwordx4 v[4:7], v[23:24], off offset:3840
	s_movk_i32 s2, 0x1000
	v_add_co_u32_e32 v8, vcc, s2, v23
	v_addc_co_u32_e32 v9, vcc, 0, v24, vcc
	global_load_dwordx4 v[11:14], v[8:9], off offset:3584
	s_movk_i32 s2, 0x2000
	ds_write_b128 v56, v[0:3]
	v_add_co_u32_e32 v8, vcc, s2, v23
	ds_read_b128 v[0:3], v56 offset:3840
	ds_read_b128 v[15:18], v10 offset:34560
	v_addc_co_u32_e32 v9, vcc, 0, v24, vcc
	global_load_dwordx4 v[19:22], v[8:9], off offset:3328
	s_movk_i32 s2, 0x3000
	s_waitcnt lgkmcnt(0)
	v_add_f64 v[8:9], v[0:1], v[15:16]
	v_add_f64 v[25:26], v[17:18], v[2:3]
	v_add_f64 v[15:16], v[0:1], -v[15:16]
	v_add_f64 v[0:1], v[2:3], -v[17:18]
	v_mad_u32_u24 v69, v50, 48, v56
	v_add_u32_e32 v51, 0xf0, v50
	v_lshl_add_u32 v70, v51, 6, 0
	s_waitcnt vmcnt(2)
	v_fma_f64 v[2:3], v[15:16], v[6:7], v[8:9]
	v_fma_f64 v[17:18], v[25:26], v[6:7], v[0:1]
	v_fma_f64 v[8:9], -v[15:16], v[6:7], v[8:9]
	v_fma_f64 v[27:28], v[25:26], v[6:7], -v[0:1]
	v_fma_f64 v[0:1], -v[25:26], v[4:5], v[2:3]
	v_fma_f64 v[2:3], v[15:16], v[4:5], v[17:18]
	v_fma_f64 v[6:7], v[25:26], v[4:5], v[8:9]
	;; [unrolled: 1-line block ×3, first 2 shown]
	ds_write_b128 v56, v[0:3] offset:3840
	ds_write_b128 v10, v[6:9] offset:34560
	v_add_co_u32_e32 v8, vcc, s2, v23
	v_addc_co_u32_e32 v9, vcc, 0, v24, vcc
	ds_read_b128 v[0:3], v56 offset:7680
	ds_read_b128 v[4:7], v10 offset:30720
	global_load_dwordx4 v[15:18], v[8:9], off offset:3072
	s_movk_i32 s2, 0x78
	v_cmp_gt_u32_e32 vcc, s2, v50
	s_waitcnt lgkmcnt(0)
	v_add_f64 v[8:9], v[0:1], v[4:5]
	v_add_f64 v[23:24], v[6:7], v[2:3]
	v_add_f64 v[25:26], v[0:1], -v[4:5]
	v_add_f64 v[0:1], v[2:3], -v[6:7]
	s_waitcnt vmcnt(2)
	v_fma_f64 v[2:3], v[25:26], v[13:14], v[8:9]
	v_fma_f64 v[4:5], v[23:24], v[13:14], v[0:1]
	v_fma_f64 v[6:7], -v[25:26], v[13:14], v[8:9]
	v_fma_f64 v[8:9], v[23:24], v[13:14], -v[0:1]
	v_fma_f64 v[0:1], -v[23:24], v[11:12], v[2:3]
	v_fma_f64 v[2:3], v[25:26], v[11:12], v[4:5]
	v_fma_f64 v[4:5], v[23:24], v[11:12], v[6:7]
	;; [unrolled: 1-line block ×3, first 2 shown]
	ds_write_b128 v56, v[0:3] offset:7680
	ds_write_b128 v10, v[4:7] offset:30720
	ds_read_b128 v[0:3], v56 offset:11520
	ds_read_b128 v[4:7], v10 offset:26880
	s_waitcnt lgkmcnt(0)
	v_add_f64 v[8:9], v[0:1], v[4:5]
	v_add_f64 v[11:12], v[6:7], v[2:3]
	v_add_f64 v[13:14], v[0:1], -v[4:5]
	v_add_f64 v[0:1], v[2:3], -v[6:7]
	s_waitcnt vmcnt(1)
	v_fma_f64 v[2:3], v[13:14], v[21:22], v[8:9]
	v_fma_f64 v[4:5], v[11:12], v[21:22], v[0:1]
	v_fma_f64 v[6:7], -v[13:14], v[21:22], v[8:9]
	v_fma_f64 v[8:9], v[11:12], v[21:22], -v[0:1]
	v_fma_f64 v[0:1], -v[11:12], v[19:20], v[2:3]
	v_fma_f64 v[2:3], v[13:14], v[19:20], v[4:5]
	v_fma_f64 v[4:5], v[11:12], v[19:20], v[6:7]
	;; [unrolled: 1-line block ×3, first 2 shown]
	ds_write_b128 v56, v[0:3] offset:11520
	ds_write_b128 v10, v[4:7] offset:26880
	ds_read_b128 v[0:3], v56 offset:15360
	ds_read_b128 v[4:7], v10 offset:23040
	s_waitcnt lgkmcnt(0)
	v_add_f64 v[8:9], v[0:1], v[4:5]
	v_add_f64 v[11:12], v[6:7], v[2:3]
	v_add_f64 v[13:14], v[0:1], -v[4:5]
	v_add_f64 v[0:1], v[2:3], -v[6:7]
	s_waitcnt vmcnt(0)
	v_fma_f64 v[2:3], v[13:14], v[17:18], v[8:9]
	v_fma_f64 v[4:5], v[11:12], v[17:18], v[0:1]
	v_fma_f64 v[6:7], -v[13:14], v[17:18], v[8:9]
	v_fma_f64 v[8:9], v[11:12], v[17:18], -v[0:1]
	v_fma_f64 v[0:1], -v[11:12], v[15:16], v[2:3]
	v_fma_f64 v[2:3], v[13:14], v[15:16], v[4:5]
	v_fma_f64 v[4:5], v[11:12], v[15:16], v[6:7]
	;; [unrolled: 1-line block ×3, first 2 shown]
	ds_write_b128 v56, v[0:3] offset:15360
	ds_write_b128 v10, v[4:7] offset:23040
	s_waitcnt lgkmcnt(0)
	s_barrier
	s_barrier
	ds_read_b128 v[0:3], v56 offset:9600
	ds_read_b128 v[4:7], v56 offset:13440
	;; [unrolled: 1-line block ×6, first 2 shown]
	ds_read_b128 v[24:27], v56
	ds_read_b128 v[28:31], v56 offset:36480
	ds_read_b128 v[32:35], v56 offset:3840
	ds_read_b128 v[36:39], v56 offset:7680
	ds_read_b128 v[40:43], v56 offset:23040
	ds_read_b128 v[44:47], v56 offset:26880
	s_waitcnt lgkmcnt(9)
	v_add_f64 v[54:55], v[0:1], -v[8:9]
	v_add_f64 v[57:58], v[2:3], -v[10:11]
	s_waitcnt lgkmcnt(5)
	v_add_f64 v[59:60], v[24:25], -v[16:17]
	v_add_f64 v[61:62], v[26:27], -v[18:19]
	;; [unrolled: 3-line block ×3, first 2 shown]
	v_add_f64 v[12:13], v[4:5], -v[12:13]
	v_add_f64 v[14:15], v[6:7], -v[14:15]
	s_waitcnt lgkmcnt(0)
	v_add_f64 v[8:9], v[36:37], -v[44:45]
	v_add_f64 v[10:11], v[38:39], -v[46:47]
	;; [unrolled: 1-line block ×4, first 2 shown]
	v_fma_f64 v[30:31], v[0:1], 2.0, -v[54:55]
	v_fma_f64 v[2:3], v[2:3], 2.0, -v[57:58]
	;; [unrolled: 1-line block ×4, first 2 shown]
	v_add_f64 v[16:17], v[59:60], v[57:58]
	v_add_f64 v[18:19], v[61:62], -v[54:55]
	v_fma_f64 v[54:55], v[32:33], 2.0, -v[40:41]
	v_fma_f64 v[57:58], v[34:35], 2.0, -v[63:64]
	;; [unrolled: 1-line block ×4, first 2 shown]
	v_add_f64 v[24:25], v[40:41], v[14:15]
	v_add_f64 v[26:27], v[63:64], -v[12:13]
	v_fma_f64 v[12:13], v[36:37], 2.0, -v[8:9]
	v_fma_f64 v[14:15], v[38:39], 2.0, -v[10:11]
	v_fma_f64 v[65:66], v[20:21], 2.0, -v[42:43]
	v_fma_f64 v[67:68], v[22:23], 2.0, -v[28:29]
	v_add_f64 v[20:21], v[44:45], -v[30:31]
	v_add_f64 v[22:23], v[46:47], -v[2:3]
	v_add_f64 v[0:1], v[8:9], v[28:29]
	v_add_f64 v[28:29], v[54:55], -v[4:5]
	v_add_f64 v[30:31], v[57:58], -v[6:7]
	;; [unrolled: 1-line block ×3, first 2 shown]
	v_fma_f64 v[32:33], v[59:60], 2.0, -v[16:17]
	v_fma_f64 v[34:35], v[61:62], 2.0, -v[18:19]
	v_add_f64 v[4:5], v[12:13], -v[65:66]
	v_add_f64 v[6:7], v[14:15], -v[67:68]
	v_fma_f64 v[36:37], v[40:41], 2.0, -v[24:25]
	v_fma_f64 v[40:41], v[44:45], 2.0, -v[20:21]
	;; [unrolled: 1-line block ×6, first 2 shown]
	s_barrier
	ds_write_b128 v69, v[16:19] offset:48
	ds_write_b128 v69, v[32:35] offset:16
	;; [unrolled: 1-line block ×3, first 2 shown]
	ds_write_b128 v69, v[40:43]
	ds_write_b128 v70, v[44:47]
	ds_write_b128 v70, v[36:39] offset:16
	ds_write_b128 v70, v[28:31] offset:32
	;; [unrolled: 1-line block ×3, first 2 shown]
	s_and_saveexec_b64 s[2:3], vcc
	s_cbranch_execz .LBB0_21
; %bb.20:
	v_fma_f64 v[14:15], v[14:15], 2.0, -v[6:7]
	v_fma_f64 v[12:13], v[12:13], 2.0, -v[4:5]
	;; [unrolled: 1-line block ×4, first 2 shown]
	v_lshl_add_u32 v16, v50, 6, 0
	ds_write_b128 v16, v[4:7] offset:30752
	ds_write_b128 v16, v[12:15] offset:30720
	;; [unrolled: 1-line block ×4, first 2 shown]
.LBB0_21:
	s_or_b64 exec, exec, s[2:3]
	v_and_b32_e32 v22, 3, v50
	v_mul_u32_u24_e32 v8, 9, v22
	v_lshlrev_b32_e32 v20, 4, v8
	s_waitcnt lgkmcnt(0)
	s_barrier
	global_load_dwordx4 v[8:11], v20, s[12:13]
	global_load_dwordx4 v[12:15], v20, s[12:13] offset:16
	global_load_dwordx4 v[16:19], v20, s[12:13] offset:32
	;; [unrolled: 1-line block ×8, first 2 shown]
	ds_read_b128 v[57:60], v56 offset:3840
	ds_read_b128 v[61:64], v56 offset:7680
	;; [unrolled: 1-line block ×3, first 2 shown]
	s_mov_b32 s16, 0x134454ff
	s_mov_b32 s17, 0xbfee6f0e
	;; [unrolled: 1-line block ×16, first 2 shown]
	s_movk_i32 s24, 0xcd
	s_waitcnt vmcnt(8) lgkmcnt(2)
	v_mul_f64 v[20:21], v[59:60], v[10:11]
	v_mul_f64 v[10:11], v[57:58], v[10:11]
	s_waitcnt vmcnt(7) lgkmcnt(1)
	v_mul_f64 v[54:55], v[63:64], v[14:15]
	v_mul_f64 v[14:15], v[61:62], v[14:15]
	v_fma_f64 v[69:70], v[57:58], v[8:9], v[20:21]
	v_fma_f64 v[8:9], v[59:60], v[8:9], -v[10:11]
	ds_read_b128 v[57:60], v56 offset:15360
	s_waitcnt vmcnt(6) lgkmcnt(1)
	v_mul_f64 v[10:11], v[67:68], v[18:19]
	v_mul_f64 v[18:19], v[65:66], v[18:19]
	v_fma_f64 v[54:55], v[61:62], v[12:13], v[54:55]
	v_fma_f64 v[71:72], v[63:64], v[12:13], -v[14:15]
	s_waitcnt vmcnt(5) lgkmcnt(0)
	v_mul_f64 v[73:74], v[59:60], v[25:26]
	ds_read_b128 v[12:15], v56 offset:19200
	ds_read_b128 v[61:64], v56 offset:23040
	v_mul_f64 v[25:26], v[57:58], v[25:26]
	v_fma_f64 v[20:21], v[65:66], v[16:17], v[10:11]
	v_fma_f64 v[10:11], v[67:68], v[16:17], -v[18:19]
	s_waitcnt vmcnt(4) lgkmcnt(1)
	v_mul_f64 v[16:17], v[14:15], v[29:30]
	v_mul_f64 v[29:30], v[12:13], v[29:30]
	v_fma_f64 v[57:58], v[57:58], v[23:24], v[73:74]
	s_waitcnt vmcnt(3) lgkmcnt(0)
	v_mul_f64 v[65:66], v[63:64], v[33:34]
	v_mul_f64 v[33:34], v[61:62], v[33:34]
	v_fma_f64 v[59:60], v[59:60], v[23:24], -v[25:26]
	ds_read_b128 v[23:26], v56 offset:30720
	v_fma_f64 v[18:19], v[12:13], v[27:28], v[16:17]
	v_fma_f64 v[14:15], v[14:15], v[27:28], -v[29:30]
	ds_read_b128 v[27:30], v56 offset:26880
	s_waitcnt vmcnt(2) lgkmcnt(1)
	v_mul_f64 v[12:13], v[25:26], v[37:38]
	v_mul_f64 v[16:17], v[23:24], v[37:38]
	v_fma_f64 v[37:38], v[61:62], v[31:32], v[65:66]
	v_fma_f64 v[61:62], v[63:64], v[31:32], -v[33:34]
	ds_read_b128 v[31:34], v56 offset:34560
	s_waitcnt vmcnt(1) lgkmcnt(1)
	v_mul_f64 v[63:64], v[29:30], v[41:42]
	v_mul_f64 v[41:42], v[27:28], v[41:42]
	v_add_f64 v[67:68], v[57:58], -v[54:55]
	v_fma_f64 v[65:66], v[23:24], v[35:36], v[12:13]
	v_fma_f64 v[35:36], v[25:26], v[35:36], -v[16:17]
	ds_read_b128 v[23:26], v56
	s_waitcnt vmcnt(0) lgkmcnt(1)
	v_mul_f64 v[12:13], v[33:34], v[45:46]
	v_mul_f64 v[45:46], v[31:32], v[45:46]
	v_fma_f64 v[27:28], v[27:28], v[39:40], v[63:64]
	v_fma_f64 v[16:17], v[29:30], v[39:40], -v[41:42]
	v_add_f64 v[39:40], v[59:60], v[61:62]
	v_add_f64 v[63:64], v[65:66], -v[37:38]
	v_add_f64 v[41:42], v[71:72], v[35:36]
	s_waitcnt lgkmcnt(0)
	v_fma_f64 v[29:30], v[31:32], v[43:44], v[12:13]
	v_fma_f64 v[12:13], v[33:34], v[43:44], -v[45:46]
	v_add_f64 v[31:32], v[57:58], v[37:38]
	v_add_f64 v[33:34], v[54:55], v[65:66]
	;; [unrolled: 1-line block ×3, first 2 shown]
	v_add_f64 v[45:46], v[54:55], -v[57:58]
	v_add_f64 v[54:55], v[54:55], -v[65:66]
	s_barrier
	v_fma_f64 v[31:32], v[31:32], -0.5, v[23:24]
	v_fma_f64 v[23:24], v[33:34], -0.5, v[23:24]
	;; [unrolled: 1-line block ×4, first 2 shown]
	v_add_f64 v[41:42], v[37:38], -v[65:66]
	v_add_f64 v[25:26], v[25:26], v[71:72]
	v_add_f64 v[45:46], v[45:46], v[63:64]
	v_add_f64 v[63:64], v[71:72], -v[59:60]
	v_add_f64 v[43:44], v[43:44], v[57:58]
	v_add_f64 v[57:58], v[57:58], -v[37:38]
	;; [unrolled: 2-line block ×3, first 2 shown]
	v_add_f64 v[25:26], v[25:26], v[59:60]
	v_add_f64 v[37:38], v[43:44], v[37:38]
	v_add_f64 v[43:44], v[61:62], -v[35:36]
	v_add_f64 v[63:64], v[63:64], v[67:68]
	v_add_f64 v[67:68], v[59:60], -v[71:72]
	v_add_f64 v[71:72], v[71:72], -v[35:36]
	;; [unrolled: 1-line block ×3, first 2 shown]
	v_add_f64 v[25:26], v[25:26], v[61:62]
	v_add_f64 v[37:38], v[37:38], v[65:66]
	;; [unrolled: 1-line block ×4, first 2 shown]
	v_fma_f64 v[67:68], v[71:72], s[16:17], v[31:32]
	v_fma_f64 v[31:32], v[71:72], s[14:15], v[31:32]
	v_fma_f64 v[61:62], v[59:60], s[14:15], v[23:24]
	v_fma_f64 v[23:24], v[59:60], s[16:17], v[23:24]
	v_add_f64 v[25:26], v[25:26], v[35:36]
	v_add_f64 v[35:36], v[69:70], v[20:21]
	v_fma_f64 v[65:66], v[65:66], -0.5, v[69:70]
	v_fma_f64 v[67:68], v[59:60], s[2:3], v[67:68]
	v_fma_f64 v[31:32], v[59:60], s[8:9], v[31:32]
	;; [unrolled: 1-line block ×12, first 2 shown]
	v_add_f64 v[57:58], v[10:11], -v[12:13]
	v_add_f64 v[31:32], v[14:15], -v[16:17]
	v_fma_f64 v[71:72], v[54:55], s[8:9], v[71:72]
	v_fma_f64 v[39:40], v[54:55], s[2:3], v[39:40]
	v_add_f64 v[54:55], v[20:21], v[29:30]
	v_fma_f64 v[61:62], v[41:42], s[6:7], v[61:62]
	v_fma_f64 v[41:42], v[41:42], s[6:7], v[23:24]
	v_add_f64 v[35:36], v[35:36], v[18:19]
	v_fma_f64 v[23:24], v[57:58], s[16:17], v[65:66]
	v_fma_f64 v[65:66], v[57:58], s[14:15], v[65:66]
	v_fma_f64 v[71:72], v[43:44], s[6:7], v[71:72]
	v_fma_f64 v[73:74], v[43:44], s[6:7], v[39:40]
	v_fma_f64 v[54:55], v[54:55], -0.5, v[69:70]
	v_fma_f64 v[59:60], v[63:64], s[6:7], v[59:60]
	v_fma_f64 v[63:64], v[63:64], s[6:7], v[33:34]
	v_add_f64 v[35:36], v[35:36], v[27:28]
	v_fma_f64 v[23:24], v[31:32], s[2:3], v[23:24]
	v_fma_f64 v[39:40], v[31:32], s[8:9], v[65:66]
	v_add_f64 v[65:66], v[18:19], -v[20:21]
	v_add_f64 v[33:34], v[20:21], -v[18:19]
	v_fma_f64 v[43:44], v[31:32], s[14:15], v[54:55]
	v_fma_f64 v[31:32], v[31:32], s[16:17], v[54:55]
	v_add_f64 v[54:55], v[27:28], -v[29:30]
	v_add_f64 v[69:70], v[29:30], -v[27:28]
	v_add_f64 v[35:36], v[35:36], v[29:30]
	v_add_f64 v[20:21], v[20:21], -v[29:30]
	v_add_f64 v[29:30], v[10:11], v[12:13]
	v_add_f64 v[18:19], v[18:19], -v[27:28]
	v_fma_f64 v[43:44], v[57:58], s[2:3], v[43:44]
	v_fma_f64 v[31:32], v[57:58], s[8:9], v[31:32]
	v_add_f64 v[54:55], v[65:66], v[54:55]
	v_add_f64 v[65:66], v[14:15], v[16:17]
	;; [unrolled: 1-line block ×3, first 2 shown]
	v_add_f64 v[27:28], v[10:11], -v[14:15]
	v_add_f64 v[10:11], v[14:15], -v[10:11]
	v_add_f64 v[33:34], v[33:34], v[69:70]
	v_fma_f64 v[31:32], v[54:55], s[6:7], v[31:32]
	v_fma_f64 v[65:66], v[65:66], -0.5, v[8:9]
	v_fma_f64 v[8:9], v[29:30], -0.5, v[8:9]
	v_add_f64 v[29:30], v[12:13], -v[16:17]
	v_add_f64 v[57:58], v[57:58], v[14:15]
	v_add_f64 v[14:15], v[16:17], -v[12:13]
	v_fma_f64 v[23:24], v[33:34], s[6:7], v[23:24]
	v_add_f64 v[27:28], v[27:28], v[29:30]
	v_fma_f64 v[29:30], v[20:21], s[14:15], v[65:66]
	v_add_f64 v[10:11], v[10:11], v[14:15]
	v_fma_f64 v[14:15], v[18:19], s[16:17], v[8:9]
	v_fma_f64 v[8:9], v[18:19], s[14:15], v[8:9]
	;; [unrolled: 1-line block ×3, first 2 shown]
	v_add_f64 v[16:17], v[57:58], v[16:17]
	v_fma_f64 v[29:30], v[18:19], s[8:9], v[29:30]
	v_fma_f64 v[14:15], v[20:21], s[8:9], v[14:15]
	;; [unrolled: 1-line block ×6, first 2 shown]
	v_add_f64 v[54:55], v[16:17], v[12:13]
	v_fma_f64 v[29:30], v[27:28], s[6:7], v[29:30]
	v_fma_f64 v[14:15], v[10:11], s[6:7], v[14:15]
	v_fma_f64 v[10:11], v[10:11], s[6:7], v[8:9]
	v_fma_f64 v[12:13], v[27:28], s[6:7], v[18:19]
	v_add_f64 v[8:9], v[37:38], v[35:36]
	v_mul_f64 v[39:40], v[29:30], s[2:3]
	v_mul_f64 v[27:28], v[29:30], s[22:23]
	;; [unrolled: 1-line block ×8, first 2 shown]
	v_fma_f64 v[39:40], v[23:24], s[22:23], v[39:40]
	v_fma_f64 v[69:70], v[23:24], s[8:9], v[27:28]
	;; [unrolled: 1-line block ×8, first 2 shown]
	v_add_f64 v[10:11], v[25:26], v[54:55]
	v_add_f64 v[12:13], v[67:68], v[39:40]
	;; [unrolled: 1-line block ×6, first 2 shown]
	v_add_f64 v[29:30], v[25:26], -v[54:55]
	v_add_f64 v[25:26], v[73:74], v[77:78]
	v_add_f64 v[27:28], v[37:38], -v[35:36]
	v_add_f64 v[31:32], v[45:46], v[65:66]
	v_add_f64 v[33:34], v[63:64], v[20:21]
	v_add_f64 v[37:38], v[59:60], -v[69:70]
	v_add_f64 v[59:60], v[63:64], -v[20:21]
	v_lshrrev_b32_e32 v20, 2, v50
	v_mul_u32_u24_e32 v20, 40, v20
	v_add_f64 v[35:36], v[67:68], -v[39:40]
	v_or_b32_e32 v20, v20, v22
	v_add_f64 v[39:40], v[61:62], -v[43:44]
	v_add_f64 v[43:44], v[41:42], -v[57:58]
	;; [unrolled: 1-line block ×3, first 2 shown]
	v_lshl_add_u32 v20, v20, 4, 0
	v_add_f64 v[57:58], v[45:46], -v[65:66]
	v_add_f64 v[45:46], v[73:74], -v[77:78]
	ds_write_b128 v20, v[8:11]
	ds_write_b128 v20, v[12:15] offset:64
	ds_write_b128 v20, v[16:19] offset:128
	;; [unrolled: 1-line block ×9, first 2 shown]
	v_mul_lo_u16_sdwa v8, v50, s24 dst_sel:DWORD dst_unused:UNUSED_PAD src0_sel:BYTE_0 src1_sel:DWORD
	v_lshrrev_b16_e32 v24, 13, v8
	v_mul_lo_u16_e32 v8, 40, v24
	v_sub_u16_e32 v25, v50, v8
	v_mov_b32_e32 v8, 9
	v_mul_u32_u24_sdwa v8, v25, v8 dst_sel:DWORD dst_unused:UNUSED_PAD src0_sel:BYTE_0 src1_sel:DWORD
	v_lshlrev_b32_e32 v46, 4, v8
	s_waitcnt lgkmcnt(0)
	s_barrier
	global_load_dwordx4 v[8:11], v46, s[12:13] offset:576
	global_load_dwordx4 v[12:15], v46, s[12:13] offset:592
	;; [unrolled: 1-line block ×9, first 2 shown]
	ds_read_b128 v[57:60], v56 offset:3840
	ds_read_b128 v[61:64], v56 offset:7680
	v_mul_u32_u24_e32 v24, 0x1900, v24
	s_waitcnt vmcnt(8) lgkmcnt(1)
	v_mul_f64 v[46:47], v[59:60], v[10:11]
	v_mul_f64 v[10:11], v[57:58], v[10:11]
	s_waitcnt vmcnt(7) lgkmcnt(0)
	v_mul_f64 v[54:55], v[63:64], v[14:15]
	v_mul_f64 v[14:15], v[61:62], v[14:15]
	v_fma_f64 v[46:47], v[57:58], v[8:9], v[46:47]
	v_fma_f64 v[65:66], v[59:60], v[8:9], -v[10:11]
	ds_read_b128 v[8:11], v56 offset:11520
	ds_read_b128 v[57:60], v56 offset:15360
	v_fma_f64 v[54:55], v[61:62], v[12:13], v[54:55]
	v_fma_f64 v[63:64], v[63:64], v[12:13], -v[14:15]
	s_waitcnt vmcnt(6) lgkmcnt(1)
	v_mul_f64 v[61:62], v[10:11], v[18:19]
	v_mul_f64 v[12:13], v[8:9], v[18:19]
	s_waitcnt vmcnt(5) lgkmcnt(0)
	v_mul_f64 v[18:19], v[59:60], v[22:23]
	v_mul_f64 v[22:23], v[57:58], v[22:23]
	v_fma_f64 v[61:62], v[8:9], v[16:17], v[61:62]
	v_fma_f64 v[67:68], v[10:11], v[16:17], -v[12:13]
	ds_read_b128 v[8:11], v56 offset:19200
	ds_read_b128 v[12:15], v56 offset:23040
	v_fma_f64 v[57:58], v[57:58], v[20:21], v[18:19]
	v_fma_f64 v[20:21], v[59:60], v[20:21], -v[22:23]
	;; [unrolled: 12-line block ×3, first 2 shown]
	s_waitcnt vmcnt(2) lgkmcnt(1)
	v_mul_f64 v[12:13], v[10:11], v[36:37]
	s_waitcnt vmcnt(1) lgkmcnt(0)
	v_mul_f64 v[32:33], v[16:17], v[40:41]
	v_mul_f64 v[14:15], v[8:9], v[36:37]
	;; [unrolled: 1-line block ×3, first 2 shown]
	v_add_f64 v[59:60], v[57:58], v[22:23]
	v_fma_f64 v[36:37], v[8:9], v[34:35], v[12:13]
	v_fma_f64 v[18:19], v[18:19], v[38:39], -v[32:33]
	v_fma_f64 v[34:35], v[10:11], v[34:35], -v[14:15]
	ds_read_b128 v[8:11], v56 offset:34560
	ds_read_b128 v[12:15], v56
	v_fma_f64 v[16:17], v[16:17], v[38:39], v[40:41]
	s_waitcnt vmcnt(0) lgkmcnt(0)
	s_barrier
	v_mul_f64 v[32:33], v[10:11], v[44:45]
	v_mul_f64 v[38:39], v[8:9], v[44:45]
	v_fma_f64 v[40:41], v[59:60], -0.5, v[12:13]
	v_add_f64 v[44:45], v[63:64], -v[18:19]
	v_add_f64 v[59:60], v[16:17], -v[22:23]
	v_fma_f64 v[8:9], v[8:9], v[42:43], v[32:33]
	v_fma_f64 v[10:11], v[10:11], v[42:43], -v[38:39]
	v_add_f64 v[38:39], v[20:21], -v[30:31]
	v_fma_f64 v[32:33], v[44:45], s[16:17], v[40:41]
	v_add_f64 v[42:43], v[54:55], -v[57:58]
	v_fma_f64 v[40:41], v[44:45], s[14:15], v[40:41]
	v_fma_f64 v[32:33], v[38:39], s[2:3], v[32:33]
	v_add_f64 v[42:43], v[42:43], v[59:60]
	v_fma_f64 v[40:41], v[38:39], s[8:9], v[40:41]
	v_add_f64 v[59:60], v[54:55], v[16:17]
	v_fma_f64 v[69:70], v[42:43], s[6:7], v[32:33]
	v_fma_f64 v[71:72], v[42:43], s[6:7], v[40:41]
	v_add_f64 v[32:33], v[57:58], -v[54:55]
	v_add_f64 v[40:41], v[22:23], -v[16:17]
	v_fma_f64 v[42:43], v[59:60], -0.5, v[12:13]
	v_add_f64 v[12:13], v[12:13], v[54:55]
	v_add_f64 v[32:33], v[32:33], v[40:41]
	v_fma_f64 v[40:41], v[38:39], s[14:15], v[42:43]
	v_fma_f64 v[38:39], v[38:39], s[16:17], v[42:43]
	v_add_f64 v[12:13], v[12:13], v[57:58]
	v_add_f64 v[42:43], v[20:21], v[30:31]
	v_fma_f64 v[40:41], v[44:45], s[2:3], v[40:41]
	v_fma_f64 v[38:39], v[44:45], s[8:9], v[38:39]
	v_add_f64 v[12:13], v[12:13], v[22:23]
	v_add_f64 v[44:45], v[63:64], v[18:19]
	v_add_f64 v[22:23], v[57:58], -v[22:23]
	v_fma_f64 v[42:43], v[42:43], -0.5, v[14:15]
	v_add_f64 v[57:58], v[18:19], -v[30:31]
	v_fma_f64 v[73:74], v[32:33], s[6:7], v[40:41]
	v_add_f64 v[12:13], v[12:13], v[16:17]
	v_add_f64 v[16:17], v[54:55], -v[16:17]
	v_add_f64 v[54:55], v[14:15], v[63:64]
	v_fma_f64 v[14:15], v[44:45], -0.5, v[14:15]
	v_add_f64 v[44:45], v[63:64], -v[20:21]
	v_add_f64 v[54:55], v[54:55], v[20:21]
	v_add_f64 v[20:21], v[20:21], -v[63:64]
	v_add_f64 v[44:45], v[44:45], v[57:58]
	v_fma_f64 v[57:58], v[16:17], s[14:15], v[42:43]
	v_fma_f64 v[42:43], v[16:17], s[16:17], v[42:43]
	;; [unrolled: 1-line block ×3, first 2 shown]
	v_add_f64 v[38:39], v[8:9], -v[36:37]
	v_add_f64 v[40:41], v[54:55], v[30:31]
	v_add_f64 v[30:31], v[30:31], -v[18:19]
	v_fma_f64 v[54:55], v[22:23], s[8:9], v[57:58]
	v_fma_f64 v[57:58], v[22:23], s[16:17], v[14:15]
	;; [unrolled: 1-line block ×4, first 2 shown]
	v_add_f64 v[22:23], v[28:29], v[36:37]
	v_add_f64 v[18:19], v[40:41], v[18:19]
	v_add_f64 v[20:21], v[20:21], v[30:31]
	v_add_f64 v[30:31], v[61:62], -v[28:29]
	v_add_f64 v[40:41], v[28:29], -v[61:62]
	v_fma_f64 v[32:33], v[16:17], s[8:9], v[57:58]
	v_fma_f64 v[14:15], v[16:17], s[2:3], v[14:15]
	;; [unrolled: 1-line block ×3, first 2 shown]
	v_fma_f64 v[16:17], v[22:23], -0.5, v[46:47]
	v_add_f64 v[22:23], v[67:68], -v[10:11]
	v_add_f64 v[42:43], v[36:37], -v[8:9]
	v_fma_f64 v[54:55], v[44:45], s[6:7], v[54:55]
	v_add_f64 v[44:45], v[65:66], v[67:68]
	v_fma_f64 v[77:78], v[20:21], s[6:7], v[32:33]
	v_fma_f64 v[79:80], v[20:21], s[6:7], v[14:15]
	v_add_f64 v[14:15], v[61:62], v[8:9]
	v_add_f64 v[20:21], v[30:31], v[38:39]
	v_add_f64 v[38:39], v[26:27], -v[34:35]
	v_fma_f64 v[30:31], v[22:23], s[16:17], v[16:17]
	v_fma_f64 v[16:17], v[22:23], s[14:15], v[16:17]
	v_add_f64 v[32:33], v[40:41], v[42:43]
	v_add_f64 v[42:43], v[10:11], -v[34:35]
	v_add_f64 v[44:45], v[44:45], v[26:27]
	v_fma_f64 v[14:15], v[14:15], -0.5, v[46:47]
	v_fma_f64 v[30:31], v[38:39], s[2:3], v[30:31]
	v_fma_f64 v[16:17], v[38:39], s[8:9], v[16:17]
	;; [unrolled: 1-line block ×4, first 2 shown]
	v_add_f64 v[38:39], v[46:47], v[61:62]
	v_add_f64 v[46:47], v[34:35], -v[10:11]
	v_fma_f64 v[30:31], v[20:21], s[6:7], v[30:31]
	v_fma_f64 v[16:17], v[20:21], s[6:7], v[16:17]
	;; [unrolled: 1-line block ×4, first 2 shown]
	v_add_f64 v[22:23], v[67:68], -v[26:27]
	v_add_f64 v[38:39], v[38:39], v[28:29]
	v_add_f64 v[28:29], v[28:29], -v[36:37]
	v_fma_f64 v[20:21], v[32:33], s[6:7], v[40:41]
	v_fma_f64 v[14:15], v[32:33], s[6:7], v[14:15]
	v_add_f64 v[22:23], v[22:23], v[42:43]
	v_add_f64 v[42:43], v[67:68], v[10:11]
	;; [unrolled: 1-line block ×4, first 2 shown]
	v_add_f64 v[26:27], v[26:27], -v[67:68]
	v_add_f64 v[34:35], v[44:45], v[34:35]
	v_fma_f64 v[42:43], v[42:43], -0.5, v[65:66]
	v_add_f64 v[38:39], v[38:39], v[8:9]
	v_add_f64 v[8:9], v[61:62], -v[8:9]
	v_fma_f64 v[36:37], v[36:37], -0.5, v[65:66]
	v_add_f64 v[26:27], v[26:27], v[46:47]
	v_add_f64 v[10:11], v[34:35], v[10:11]
	v_fma_f64 v[46:47], v[28:29], s[16:17], v[42:43]
	v_fma_f64 v[42:43], v[28:29], s[14:15], v[42:43]
	;; [unrolled: 1-line block ×10, first 2 shown]
	v_add_f64 v[26:27], v[12:13], v[38:39]
	v_fma_f64 v[42:43], v[22:23], s[6:7], v[42:43]
	v_fma_f64 v[22:23], v[22:23], s[6:7], v[28:29]
	v_add_f64 v[38:39], v[12:13], -v[38:39]
	v_mul_f64 v[32:33], v[44:45], s[16:17]
	v_mul_f64 v[40:41], v[44:45], s[6:7]
	;; [unrolled: 1-line block ×6, first 2 shown]
	v_fma_f64 v[46:47], v[20:21], s[6:7], v[32:33]
	v_mul_f64 v[32:33], v[22:23], s[2:3]
	v_mul_f64 v[22:23], v[22:23], s[18:19]
	v_fma_f64 v[36:37], v[30:31], s[22:23], v[36:37]
	v_fma_f64 v[44:45], v[30:31], s[8:9], v[28:29]
	;; [unrolled: 1-line block ×5, first 2 shown]
	v_add_f64 v[28:29], v[18:19], v[10:11]
	v_fma_f64 v[14:15], v[16:17], s[18:19], v[32:33]
	v_fma_f64 v[22:23], v[16:17], s[8:9], v[22:23]
	v_add_f64 v[30:31], v[69:70], v[36:37]
	v_add_f64 v[32:33], v[54:55], v[44:45]
	;; [unrolled: 1-line block ×3, first 2 shown]
	v_add_f64 v[8:9], v[69:70], -v[36:37]
	v_add_f64 v[36:37], v[77:78], v[65:66]
	v_add_f64 v[40:41], v[18:19], -v[10:11]
	v_add_f64 v[42:43], v[63:64], v[61:62]
	;; [unrolled: 2-line block ×3, first 2 shown]
	v_add_f64 v[57:58], v[71:72], v[14:15]
	v_add_f64 v[59:60], v[75:76], v[22:23]
	v_add_f64 v[12:13], v[73:74], -v[46:47]
	v_mov_b32_e32 v46, 4
	v_lshlrev_b32_sdwa v25, v46, v25 dst_sel:DWORD dst_unused:UNUSED_PAD src0_sel:DWORD src1_sel:BYTE_0
	v_add_f64 v[20:21], v[71:72], -v[14:15]
	v_add_f64 v[14:15], v[77:78], -v[65:66]
	v_add3_u32 v24, 0, v24, v25
	v_add_f64 v[16:17], v[63:64], -v[61:62]
	v_add_f64 v[18:19], v[79:80], -v[67:68]
	;; [unrolled: 1-line block ×3, first 2 shown]
	ds_write_b128 v24, v[26:29]
	ds_write_b128 v24, v[30:33] offset:640
	ds_write_b128 v24, v[34:37] offset:1280
	;; [unrolled: 1-line block ×9, first 2 shown]
	s_waitcnt lgkmcnt(0)
	s_barrier
	ds_read_b128 v[24:27], v56
	ds_read_b128 v[44:47], v56 offset:6400
	ds_read_b128 v[40:43], v56 offset:12800
	;; [unrolled: 1-line block ×5, first 2 shown]
	s_movk_i32 s2, 0xa0
	v_cmp_gt_u32_e32 vcc, s2, v50
	s_and_saveexec_b64 s[2:3], vcc
	s_cbranch_execz .LBB0_23
; %bb.22:
	ds_read_b128 v[12:15], v56 offset:10240
	ds_read_b128 v[16:19], v56 offset:16640
	;; [unrolled: 1-line block ×6, first 2 shown]
.LBB0_23:
	s_or_b64 exec, exec, s[2:3]
	v_mul_u32_u24_e32 v54, 5, v50
	v_lshlrev_b32_e32 v54, 4, v54
	v_add_co_u32_e64 v54, s[2:3], s12, v54
	v_mov_b32_e32 v57, s13
	v_addc_co_u32_e64 v57, s[2:3], 0, v57, s[2:3]
	s_movk_i32 s2, 0x18c0
	v_add_co_u32_e64 v73, s[2:3], s2, v54
	v_addc_co_u32_e64 v74, s[2:3], 0, v57, s[2:3]
	s_movk_i32 s14, 0x1000
	v_add_co_u32_e64 v75, s[2:3], s14, v54
	v_addc_co_u32_e64 v76, s[2:3], 0, v57, s[2:3]
	global_load_dwordx4 v[57:60], v[75:76], off offset:2240
	global_load_dwordx4 v[61:64], v[73:74], off offset:48
	;; [unrolled: 1-line block ×4, first 2 shown]
	s_mov_b32 s2, 0xe8584caa
	s_mov_b32 s3, 0xbfebb67a
	;; [unrolled: 1-line block ×4, first 2 shown]
	v_mov_b32_e32 v55, 0
	s_waitcnt vmcnt(3) lgkmcnt(4)
	v_mul_f64 v[73:74], v[46:47], v[59:60]
	v_fma_f64 v[73:74], v[44:45], v[57:58], v[73:74]
	v_mul_f64 v[44:45], v[44:45], v[59:60]
	v_fma_f64 v[44:45], v[46:47], v[57:58], -v[44:45]
	s_waitcnt vmcnt(0) lgkmcnt(3)
	v_mul_f64 v[46:47], v[42:43], v[71:72]
	v_fma_f64 v[46:47], v[40:41], v[69:70], v[46:47]
	v_mul_f64 v[40:41], v[40:41], v[71:72]
	v_fma_f64 v[40:41], v[42:43], v[69:70], -v[40:41]
	s_waitcnt lgkmcnt(2)
	v_mul_f64 v[42:43], v[38:39], v[67:68]
	v_fma_f64 v[42:43], v[36:37], v[65:66], v[42:43]
	v_mul_f64 v[36:37], v[36:37], v[67:68]
	v_fma_f64 v[36:37], v[38:39], v[65:66], -v[36:37]
	s_waitcnt lgkmcnt(1)
	v_mul_f64 v[38:39], v[34:35], v[63:64]
	v_fma_f64 v[38:39], v[32:33], v[61:62], v[38:39]
	v_mul_f64 v[32:33], v[32:33], v[63:64]
	v_fma_f64 v[57:58], v[34:35], v[61:62], -v[32:33]
	global_load_dwordx4 v[32:35], v[75:76], off offset:2304
	s_waitcnt vmcnt(0) lgkmcnt(0)
	s_barrier
	v_mul_f64 v[59:60], v[30:31], v[34:35]
	v_fma_f64 v[59:60], v[28:29], v[32:33], v[59:60]
	v_mul_f64 v[28:29], v[28:29], v[34:35]
	v_fma_f64 v[28:29], v[30:31], v[32:33], -v[28:29]
	v_add_f64 v[30:31], v[24:25], v[46:47]
	v_add_f64 v[61:62], v[30:31], v[38:39]
	;; [unrolled: 1-line block ×3, first 2 shown]
	v_fma_f64 v[24:25], v[30:31], -0.5, v[24:25]
	v_add_f64 v[30:31], v[40:41], -v[57:58]
	v_fma_f64 v[63:64], v[30:31], s[2:3], v[24:25]
	v_fma_f64 v[65:66], v[30:31], s[6:7], v[24:25]
	v_add_f64 v[24:25], v[26:27], v[40:41]
	v_add_f64 v[67:68], v[24:25], v[57:58]
	;; [unrolled: 1-line block ×3, first 2 shown]
	v_fma_f64 v[24:25], v[24:25], -0.5, v[26:27]
	v_add_f64 v[26:27], v[46:47], -v[38:39]
	v_fma_f64 v[46:47], v[26:27], s[6:7], v[24:25]
	v_fma_f64 v[57:58], v[26:27], s[2:3], v[24:25]
	v_add_f64 v[24:25], v[73:74], v[42:43]
	v_add_f64 v[26:27], v[36:37], -v[28:29]
	v_add_f64 v[38:39], v[24:25], v[59:60]
	v_add_f64 v[24:25], v[42:43], v[59:60]
	v_fma_f64 v[24:25], v[24:25], -0.5, v[73:74]
	v_fma_f64 v[30:31], v[26:27], s[2:3], v[24:25]
	v_fma_f64 v[34:35], v[26:27], s[6:7], v[24:25]
	v_add_f64 v[24:25], v[44:45], v[36:37]
	v_add_f64 v[26:27], v[42:43], -v[59:60]
	v_add_f64 v[69:70], v[24:25], v[28:29]
	v_add_f64 v[24:25], v[36:37], v[28:29]
	v_fma_f64 v[24:25], v[24:25], -0.5, v[44:45]
	v_fma_f64 v[36:37], v[26:27], s[6:7], v[24:25]
	v_fma_f64 v[40:41], v[26:27], s[2:3], v[24:25]
	v_add_f64 v[24:25], v[61:62], v[38:39]
	v_mul_f64 v[26:27], v[36:37], s[2:3]
	v_mul_f64 v[36:37], v[36:37], 0.5
	v_fma_f64 v[42:43], v[30:31], 0.5, v[26:27]
	v_mul_f64 v[26:27], v[40:41], s[2:3]
	v_fma_f64 v[59:60], v[30:31], s[6:7], v[36:37]
	v_mul_f64 v[36:37], v[40:41], -0.5
	v_add_f64 v[28:29], v[63:64], v[42:43]
	v_fma_f64 v[44:45], v[34:35], -0.5, v[26:27]
	v_add_f64 v[26:27], v[67:68], v[69:70]
	v_fma_f64 v[71:72], v[34:35], s[6:7], v[36:37]
	v_add_f64 v[30:31], v[46:47], v[59:60]
	v_add_f64 v[36:37], v[61:62], -v[38:39]
	v_add_f64 v[38:39], v[67:68], -v[69:70]
	;; [unrolled: 1-line block ×4, first 2 shown]
	v_add_f64 v[32:33], v[65:66], v[44:45]
	v_add_f64 v[44:45], v[65:66], -v[44:45]
	v_add_f64 v[34:35], v[57:58], v[71:72]
	v_add_f64 v[46:47], v[57:58], -v[71:72]
	ds_write_b128 v56, v[24:27]
	ds_write_b128 v56, v[28:31] offset:6400
	ds_write_b128 v56, v[32:35] offset:12800
	ds_write_b128 v56, v[36:39] offset:19200
	ds_write_b128 v56, v[40:43] offset:25600
	ds_write_b128 v56, v[44:47] offset:32000
	s_and_saveexec_b64 s[8:9], vcc
	s_cbranch_execz .LBB0_25
; %bb.24:
	v_add_u32_e32 v24, 0xffffff60, v50
	v_cndmask_b32_e32 v24, v24, v51, vcc
	v_mul_i32_i24_e32 v54, 5, v24
	v_lshlrev_b64 v[24:25], 4, v[54:55]
	v_mov_b32_e32 v26, s13
	v_add_co_u32_e32 v24, vcc, s12, v24
	v_addc_co_u32_e32 v32, vcc, v26, v25, vcc
	v_add_co_u32_e32 v44, vcc, 0x18c0, v24
	v_addc_co_u32_e32 v45, vcc, 0, v32, vcc
	v_add_co_u32_e32 v46, vcc, s14, v24
	global_load_dwordx4 v[24:27], v[44:45], off offset:32
	global_load_dwordx4 v[28:31], v[44:45], off offset:16
	v_addc_co_u32_e32 v47, vcc, 0, v32, vcc
	global_load_dwordx4 v[32:35], v[46:47], off offset:2304
	global_load_dwordx4 v[36:39], v[44:45], off offset:48
	;; [unrolled: 1-line block ×3, first 2 shown]
	s_waitcnt vmcnt(4)
	v_mul_f64 v[46:47], v[20:21], v[26:27]
	s_waitcnt vmcnt(3)
	v_mul_f64 v[44:45], v[16:17], v[30:31]
	;; [unrolled: 2-line block ×3, first 2 shown]
	v_mul_f64 v[26:27], v[22:23], v[26:27]
	s_waitcnt vmcnt(1)
	v_mul_f64 v[57:58], v[4:5], v[38:39]
	s_waitcnt vmcnt(0)
	v_mul_f64 v[59:60], v[14:15], v[42:43]
	v_mul_f64 v[34:35], v[2:3], v[34:35]
	;; [unrolled: 1-line block ×3, first 2 shown]
	v_fma_f64 v[22:23], v[22:23], v[24:25], -v[46:47]
	v_mul_f64 v[30:31], v[18:19], v[30:31]
	v_fma_f64 v[2:3], v[2:3], v[32:33], -v[54:55]
	v_mul_f64 v[38:39], v[6:7], v[38:39]
	v_fma_f64 v[18:19], v[18:19], v[28:29], -v[44:45]
	v_fma_f64 v[20:21], v[20:21], v[24:25], v[26:27]
	v_fma_f64 v[6:7], v[6:7], v[36:37], -v[57:58]
	v_fma_f64 v[0:1], v[0:1], v[32:33], v[34:35]
	;; [unrolled: 2-line block ×3, first 2 shown]
	v_add_f64 v[24:25], v[22:23], v[2:3]
	v_fma_f64 v[4:5], v[4:5], v[36:37], v[38:39]
	v_fma_f64 v[12:13], v[12:13], v[40:41], v[59:60]
	v_add_f64 v[26:27], v[10:11], v[18:19]
	v_add_f64 v[30:31], v[18:19], v[6:7]
	;; [unrolled: 1-line block ×3, first 2 shown]
	v_add_f64 v[38:39], v[20:21], -v[0:1]
	v_add_f64 v[28:29], v[8:9], v[16:17]
	v_fma_f64 v[24:25], v[24:25], -0.5, v[14:15]
	v_add_f64 v[32:33], v[16:17], -v[4:5]
	v_add_f64 v[34:35], v[22:23], -v[2:3]
	v_add_f64 v[14:15], v[14:15], v[22:23]
	v_add_f64 v[16:17], v[16:17], v[4:5]
	;; [unrolled: 1-line block ×3, first 2 shown]
	v_fma_f64 v[12:13], v[36:37], -0.5, v[12:13]
	v_fma_f64 v[10:11], v[30:31], -0.5, v[10:11]
	v_fma_f64 v[22:23], v[38:39], s[2:3], v[24:25]
	v_fma_f64 v[24:25], v[38:39], s[6:7], v[24:25]
	v_add_f64 v[18:19], v[18:19], -v[6:7]
	v_add_f64 v[6:7], v[26:27], v[6:7]
	v_add_f64 v[4:5], v[28:29], v[4:5]
	v_fma_f64 v[8:9], v[16:17], -0.5, v[8:9]
	v_add_f64 v[16:17], v[20:21], v[0:1]
	v_fma_f64 v[20:21], v[34:35], s[6:7], v[12:13]
	v_fma_f64 v[12:13], v[34:35], s[2:3], v[12:13]
	v_mul_f64 v[26:27], v[24:25], 0.5
	v_fma_f64 v[28:29], v[32:33], s[2:3], v[10:11]
	v_fma_f64 v[30:31], v[32:33], s[6:7], v[10:11]
	v_mul_f64 v[10:11], v[24:25], s[2:3]
	v_mul_f64 v[0:1], v[22:23], -0.5
	v_mul_f64 v[22:23], v[22:23], s[2:3]
	v_add_f64 v[14:15], v[14:15], v[2:3]
	v_fma_f64 v[24:25], v[18:19], s[6:7], v[8:9]
	v_fma_f64 v[26:27], v[12:13], s[6:7], v[26:27]
	;; [unrolled: 1-line block ×3, first 2 shown]
	v_fma_f64 v[12:13], v[12:13], 0.5, v[10:11]
	v_fma_f64 v[32:33], v[20:21], s[6:7], v[0:1]
	v_fma_f64 v[34:35], v[20:21], -0.5, v[22:23]
	v_add_f64 v[2:3], v[6:7], -v[14:15]
	v_add_f64 v[0:1], v[4:5], -v[16:17]
	v_add_f64 v[6:7], v[6:7], v[14:15]
	v_add_f64 v[4:5], v[4:5], v[16:17]
	;; [unrolled: 1-line block ×6, first 2 shown]
	v_add_f64 v[14:15], v[30:31], -v[26:27]
	v_add_f64 v[12:13], v[8:9], -v[12:13]
	v_add_f64 v[10:11], v[28:29], -v[32:33]
	v_add_f64 v[8:9], v[24:25], -v[34:35]
	ds_write_b128 v56, v[4:7] offset:3840
	ds_write_b128 v56, v[0:3] offset:23040
	;; [unrolled: 1-line block ×6, first 2 shown]
.LBB0_25:
	s_or_b64 exec, exec, s[8:9]
	s_waitcnt lgkmcnt(0)
	s_barrier
	s_and_saveexec_b64 s[2:3], s[0:1]
	s_cbranch_execz .LBB0_27
; %bb.26:
	v_mul_lo_u32 v0, s5, v52
	v_mul_lo_u32 v1, s4, v53
	v_mad_u64_u32 v[4:5], s[0:1], s4, v52, 0
	v_mov_b32_e32 v6, s11
	v_lshl_add_u32 v14, v50, 4, 0
	v_add3_u32 v5, v5, v1, v0
	v_lshlrev_b64 v[4:5], 4, v[4:5]
	v_mov_b32_e32 v51, 0
	v_add_co_u32_e32 v7, vcc, s10, v4
	v_addc_co_u32_e32 v6, vcc, v6, v5, vcc
	v_lshlrev_b64 v[4:5], 4, v[48:49]
	ds_read_b128 v[0:3], v14
	v_add_co_u32_e32 v15, vcc, v7, v4
	v_addc_co_u32_e32 v16, vcc, v6, v5, vcc
	v_lshlrev_b64 v[4:5], 4, v[50:51]
	v_add_co_u32_e32 v8, vcc, v15, v4
	v_addc_co_u32_e32 v9, vcc, v16, v5, vcc
	ds_read_b128 v[4:7], v14 offset:34560
	s_waitcnt lgkmcnt(1)
	global_store_dwordx4 v[8:9], v[0:3], off
	v_add_u32_e32 v8, 0xf0, v50
	v_mov_b32_e32 v9, v51
	ds_read_b128 v[0:3], v14 offset:3840
	v_lshlrev_b64 v[8:9], 4, v[8:9]
	v_add_co_u32_e32 v12, vcc, v15, v8
	v_addc_co_u32_e32 v13, vcc, v16, v9, vcc
	ds_read_b128 v[8:11], v14 offset:7680
	s_waitcnt lgkmcnt(1)
	global_store_dwordx4 v[12:13], v[0:3], off
	s_nop 0
	v_add_u32_e32 v0, 0x1e0, v50
	v_mov_b32_e32 v1, v51
	v_lshlrev_b64 v[0:1], 4, v[0:1]
	v_add_co_u32_e32 v0, vcc, v15, v0
	v_addc_co_u32_e32 v1, vcc, v16, v1, vcc
	s_waitcnt lgkmcnt(0)
	global_store_dwordx4 v[0:1], v[8:11], off
	ds_read_b128 v[0:3], v14 offset:11520
	v_add_u32_e32 v8, 0x2d0, v50
	v_mov_b32_e32 v9, v51
	v_lshlrev_b64 v[8:9], 4, v[8:9]
	v_add_co_u32_e32 v12, vcc, v15, v8
	v_addc_co_u32_e32 v13, vcc, v16, v9, vcc
	ds_read_b128 v[8:11], v14 offset:15360
	s_waitcnt lgkmcnt(1)
	global_store_dwordx4 v[12:13], v[0:3], off
	s_nop 0
	v_add_u32_e32 v0, 0x3c0, v50
	v_mov_b32_e32 v1, v51
	v_lshlrev_b64 v[0:1], 4, v[0:1]
	v_add_co_u32_e32 v0, vcc, v15, v0
	v_addc_co_u32_e32 v1, vcc, v16, v1, vcc
	s_waitcnt lgkmcnt(0)
	global_store_dwordx4 v[0:1], v[8:11], off
	ds_read_b128 v[0:3], v14 offset:19200
	v_add_u32_e32 v8, 0x4b0, v50
	v_mov_b32_e32 v9, v51
	;; [unrolled: 17-line block ×3, first 2 shown]
	v_lshlrev_b64 v[8:9], 4, v[8:9]
	v_add_co_u32_e32 v12, vcc, v15, v8
	v_addc_co_u32_e32 v13, vcc, v16, v9, vcc
	ds_read_b128 v[8:11], v14 offset:30720
	s_waitcnt lgkmcnt(1)
	global_store_dwordx4 v[12:13], v[0:3], off
	s_nop 0
	v_add_u32_e32 v0, 0x780, v50
	v_mov_b32_e32 v1, v51
	v_lshlrev_b64 v[0:1], 4, v[0:1]
	v_add_u32_e32 v50, 0x870, v50
	v_add_co_u32_e32 v0, vcc, v15, v0
	v_addc_co_u32_e32 v1, vcc, v16, v1, vcc
	s_waitcnt lgkmcnt(0)
	global_store_dwordx4 v[0:1], v[8:11], off
	v_lshlrev_b64 v[0:1], 4, v[50:51]
	v_add_co_u32_e32 v0, vcc, v15, v0
	v_addc_co_u32_e32 v1, vcc, v16, v1, vcc
	global_store_dwordx4 v[0:1], v[4:7], off
.LBB0_27:
	s_endpgm
	.section	.rodata,"a",@progbits
	.p2align	6, 0x0
	.amdhsa_kernel fft_rtc_back_len2400_factors_4_10_10_6_wgs_240_tpt_240_halfLds_dp_op_CI_CI_unitstride_sbrr_C2R_dirReg
		.amdhsa_group_segment_fixed_size 0
		.amdhsa_private_segment_fixed_size 0
		.amdhsa_kernarg_size 104
		.amdhsa_user_sgpr_count 6
		.amdhsa_user_sgpr_private_segment_buffer 1
		.amdhsa_user_sgpr_dispatch_ptr 0
		.amdhsa_user_sgpr_queue_ptr 0
		.amdhsa_user_sgpr_kernarg_segment_ptr 1
		.amdhsa_user_sgpr_dispatch_id 0
		.amdhsa_user_sgpr_flat_scratch_init 0
		.amdhsa_user_sgpr_private_segment_size 0
		.amdhsa_uses_dynamic_stack 0
		.amdhsa_system_sgpr_private_segment_wavefront_offset 0
		.amdhsa_system_sgpr_workgroup_id_x 1
		.amdhsa_system_sgpr_workgroup_id_y 0
		.amdhsa_system_sgpr_workgroup_id_z 0
		.amdhsa_system_sgpr_workgroup_info 0
		.amdhsa_system_vgpr_workitem_id 0
		.amdhsa_next_free_vgpr 81
		.amdhsa_next_free_sgpr 28
		.amdhsa_reserve_vcc 1
		.amdhsa_reserve_flat_scratch 0
		.amdhsa_float_round_mode_32 0
		.amdhsa_float_round_mode_16_64 0
		.amdhsa_float_denorm_mode_32 3
		.amdhsa_float_denorm_mode_16_64 3
		.amdhsa_dx10_clamp 1
		.amdhsa_ieee_mode 1
		.amdhsa_fp16_overflow 0
		.amdhsa_exception_fp_ieee_invalid_op 0
		.amdhsa_exception_fp_denorm_src 0
		.amdhsa_exception_fp_ieee_div_zero 0
		.amdhsa_exception_fp_ieee_overflow 0
		.amdhsa_exception_fp_ieee_underflow 0
		.amdhsa_exception_fp_ieee_inexact 0
		.amdhsa_exception_int_div_zero 0
	.end_amdhsa_kernel
	.text
.Lfunc_end0:
	.size	fft_rtc_back_len2400_factors_4_10_10_6_wgs_240_tpt_240_halfLds_dp_op_CI_CI_unitstride_sbrr_C2R_dirReg, .Lfunc_end0-fft_rtc_back_len2400_factors_4_10_10_6_wgs_240_tpt_240_halfLds_dp_op_CI_CI_unitstride_sbrr_C2R_dirReg
                                        ; -- End function
	.section	.AMDGPU.csdata,"",@progbits
; Kernel info:
; codeLenInByte = 9184
; NumSgprs: 32
; NumVgprs: 81
; ScratchSize: 0
; MemoryBound: 0
; FloatMode: 240
; IeeeMode: 1
; LDSByteSize: 0 bytes/workgroup (compile time only)
; SGPRBlocks: 3
; VGPRBlocks: 20
; NumSGPRsForWavesPerEU: 32
; NumVGPRsForWavesPerEU: 81
; Occupancy: 3
; WaveLimiterHint : 1
; COMPUTE_PGM_RSRC2:SCRATCH_EN: 0
; COMPUTE_PGM_RSRC2:USER_SGPR: 6
; COMPUTE_PGM_RSRC2:TRAP_HANDLER: 0
; COMPUTE_PGM_RSRC2:TGID_X_EN: 1
; COMPUTE_PGM_RSRC2:TGID_Y_EN: 0
; COMPUTE_PGM_RSRC2:TGID_Z_EN: 0
; COMPUTE_PGM_RSRC2:TIDIG_COMP_CNT: 0
	.type	__hip_cuid_80c3c253767e259a,@object ; @__hip_cuid_80c3c253767e259a
	.section	.bss,"aw",@nobits
	.globl	__hip_cuid_80c3c253767e259a
__hip_cuid_80c3c253767e259a:
	.byte	0                               ; 0x0
	.size	__hip_cuid_80c3c253767e259a, 1

	.ident	"AMD clang version 19.0.0git (https://github.com/RadeonOpenCompute/llvm-project roc-6.4.0 25133 c7fe45cf4b819c5991fe208aaa96edf142730f1d)"
	.section	".note.GNU-stack","",@progbits
	.addrsig
	.addrsig_sym __hip_cuid_80c3c253767e259a
	.amdgpu_metadata
---
amdhsa.kernels:
  - .args:
      - .actual_access:  read_only
        .address_space:  global
        .offset:         0
        .size:           8
        .value_kind:     global_buffer
      - .offset:         8
        .size:           8
        .value_kind:     by_value
      - .actual_access:  read_only
        .address_space:  global
        .offset:         16
        .size:           8
        .value_kind:     global_buffer
      - .actual_access:  read_only
        .address_space:  global
        .offset:         24
        .size:           8
        .value_kind:     global_buffer
      - .actual_access:  read_only
        .address_space:  global
        .offset:         32
        .size:           8
        .value_kind:     global_buffer
      - .offset:         40
        .size:           8
        .value_kind:     by_value
      - .actual_access:  read_only
        .address_space:  global
        .offset:         48
        .size:           8
        .value_kind:     global_buffer
      - .actual_access:  read_only
        .address_space:  global
        .offset:         56
        .size:           8
        .value_kind:     global_buffer
      - .offset:         64
        .size:           4
        .value_kind:     by_value
      - .actual_access:  read_only
        .address_space:  global
        .offset:         72
        .size:           8
        .value_kind:     global_buffer
      - .actual_access:  read_only
        .address_space:  global
        .offset:         80
        .size:           8
        .value_kind:     global_buffer
      - .actual_access:  read_only
        .address_space:  global
        .offset:         88
        .size:           8
        .value_kind:     global_buffer
      - .actual_access:  write_only
        .address_space:  global
        .offset:         96
        .size:           8
        .value_kind:     global_buffer
    .group_segment_fixed_size: 0
    .kernarg_segment_align: 8
    .kernarg_segment_size: 104
    .language:       OpenCL C
    .language_version:
      - 2
      - 0
    .max_flat_workgroup_size: 240
    .name:           fft_rtc_back_len2400_factors_4_10_10_6_wgs_240_tpt_240_halfLds_dp_op_CI_CI_unitstride_sbrr_C2R_dirReg
    .private_segment_fixed_size: 0
    .sgpr_count:     32
    .sgpr_spill_count: 0
    .symbol:         fft_rtc_back_len2400_factors_4_10_10_6_wgs_240_tpt_240_halfLds_dp_op_CI_CI_unitstride_sbrr_C2R_dirReg.kd
    .uniform_work_group_size: 1
    .uses_dynamic_stack: false
    .vgpr_count:     81
    .vgpr_spill_count: 0
    .wavefront_size: 64
amdhsa.target:   amdgcn-amd-amdhsa--gfx906
amdhsa.version:
  - 1
  - 2
...

	.end_amdgpu_metadata
